;; amdgpu-corpus repo=ROCm/rocFFT kind=compiled arch=gfx1030 opt=O3
	.text
	.amdgcn_target "amdgcn-amd-amdhsa--gfx1030"
	.amdhsa_code_object_version 6
	.protected	fft_rtc_fwd_len900_factors_10_10_3_3_wgs_180_tpt_90_halfLds_sp_op_CI_CI_sbrr_dirReg ; -- Begin function fft_rtc_fwd_len900_factors_10_10_3_3_wgs_180_tpt_90_halfLds_sp_op_CI_CI_sbrr_dirReg
	.globl	fft_rtc_fwd_len900_factors_10_10_3_3_wgs_180_tpt_90_halfLds_sp_op_CI_CI_sbrr_dirReg
	.p2align	8
	.type	fft_rtc_fwd_len900_factors_10_10_3_3_wgs_180_tpt_90_halfLds_sp_op_CI_CI_sbrr_dirReg,@function
fft_rtc_fwd_len900_factors_10_10_3_3_wgs_180_tpt_90_halfLds_sp_op_CI_CI_sbrr_dirReg: ; @fft_rtc_fwd_len900_factors_10_10_3_3_wgs_180_tpt_90_halfLds_sp_op_CI_CI_sbrr_dirReg
; %bb.0:
	s_clause 0x2
	s_load_dwordx4 s[16:19], s[4:5], 0x18
	s_load_dwordx4 s[8:11], s[4:5], 0x0
	;; [unrolled: 1-line block ×3, first 2 shown]
	v_mul_u32_u24_e32 v1, 0x2d9, v0
	v_mov_b32_e32 v4, 0
	v_mov_b32_e32 v2, 0
	;; [unrolled: 1-line block ×3, first 2 shown]
	s_waitcnt lgkmcnt(0)
	s_load_dwordx2 s[20:21], s[16:17], 0x0
	s_load_dwordx2 s[2:3], s[18:19], 0x0
	v_lshrrev_b32_e32 v27, 16, v1
	v_cmp_lt_u64_e64 s0, s[10:11], 2
	v_mov_b32_e32 v7, v4
	v_lshl_add_u32 v6, s6, 1, v27
	s_and_b32 vcc_lo, exec_lo, s0
	s_cbranch_vccnz .LBB0_8
; %bb.1:
	s_load_dwordx2 s[0:1], s[4:5], 0x10
	v_mov_b32_e32 v2, 0
	v_mov_b32_e32 v3, 0
	s_add_u32 s6, s18, 8
	s_addc_u32 s7, s19, 0
	s_add_u32 s22, s16, 8
	s_addc_u32 s23, s17, 0
	v_mov_b32_e32 v9, v3
	v_mov_b32_e32 v8, v2
	s_mov_b64 s[26:27], 1
	s_waitcnt lgkmcnt(0)
	s_add_u32 s24, s0, 8
	s_addc_u32 s25, s1, 0
.LBB0_2:                                ; =>This Inner Loop Header: Depth=1
	s_load_dwordx2 s[28:29], s[24:25], 0x0
                                        ; implicit-def: $vgpr10_vgpr11
	s_mov_b32 s0, exec_lo
	s_waitcnt lgkmcnt(0)
	v_or_b32_e32 v5, s29, v7
	v_cmpx_ne_u64_e32 0, v[4:5]
	s_xor_b32 s1, exec_lo, s0
	s_cbranch_execz .LBB0_4
; %bb.3:                                ;   in Loop: Header=BB0_2 Depth=1
	v_cvt_f32_u32_e32 v1, s28
	v_cvt_f32_u32_e32 v5, s29
	s_sub_u32 s0, 0, s28
	s_subb_u32 s30, 0, s29
	v_fmac_f32_e32 v1, 0x4f800000, v5
	v_rcp_f32_e32 v1, v1
	v_mul_f32_e32 v1, 0x5f7ffffc, v1
	v_mul_f32_e32 v5, 0x2f800000, v1
	v_trunc_f32_e32 v5, v5
	v_fmac_f32_e32 v1, 0xcf800000, v5
	v_cvt_u32_f32_e32 v5, v5
	v_cvt_u32_f32_e32 v1, v1
	v_mul_lo_u32 v10, s0, v5
	v_mul_hi_u32 v11, s0, v1
	v_mul_lo_u32 v12, s30, v1
	v_add_nc_u32_e32 v10, v11, v10
	v_mul_lo_u32 v11, s0, v1
	v_add_nc_u32_e32 v10, v10, v12
	v_mul_hi_u32 v12, v1, v11
	v_mul_lo_u32 v13, v1, v10
	v_mul_hi_u32 v14, v1, v10
	v_mul_hi_u32 v15, v5, v11
	v_mul_lo_u32 v11, v5, v11
	v_mul_hi_u32 v16, v5, v10
	v_mul_lo_u32 v10, v5, v10
	v_add_co_u32 v12, vcc_lo, v12, v13
	v_add_co_ci_u32_e32 v13, vcc_lo, 0, v14, vcc_lo
	v_add_co_u32 v11, vcc_lo, v12, v11
	v_add_co_ci_u32_e32 v11, vcc_lo, v13, v15, vcc_lo
	v_add_co_ci_u32_e32 v12, vcc_lo, 0, v16, vcc_lo
	v_add_co_u32 v10, vcc_lo, v11, v10
	v_add_co_ci_u32_e32 v11, vcc_lo, 0, v12, vcc_lo
	v_add_co_u32 v1, vcc_lo, v1, v10
	v_add_co_ci_u32_e32 v5, vcc_lo, v5, v11, vcc_lo
	v_mul_hi_u32 v10, s0, v1
	v_mul_lo_u32 v12, s30, v1
	v_mul_lo_u32 v11, s0, v5
	v_add_nc_u32_e32 v10, v10, v11
	v_mul_lo_u32 v11, s0, v1
	v_add_nc_u32_e32 v10, v10, v12
	v_mul_hi_u32 v12, v1, v11
	v_mul_lo_u32 v13, v1, v10
	v_mul_hi_u32 v14, v1, v10
	v_mul_hi_u32 v15, v5, v11
	v_mul_lo_u32 v11, v5, v11
	v_mul_hi_u32 v16, v5, v10
	v_mul_lo_u32 v10, v5, v10
	v_add_co_u32 v12, vcc_lo, v12, v13
	v_add_co_ci_u32_e32 v13, vcc_lo, 0, v14, vcc_lo
	v_add_co_u32 v11, vcc_lo, v12, v11
	v_add_co_ci_u32_e32 v11, vcc_lo, v13, v15, vcc_lo
	v_add_co_ci_u32_e32 v12, vcc_lo, 0, v16, vcc_lo
	v_add_co_u32 v10, vcc_lo, v11, v10
	v_add_co_ci_u32_e32 v11, vcc_lo, 0, v12, vcc_lo
	v_add_co_u32 v1, vcc_lo, v1, v10
	v_add_co_ci_u32_e32 v5, vcc_lo, v5, v11, vcc_lo
	v_mul_hi_u32 v16, v6, v1
	v_mad_u64_u32 v[12:13], null, v7, v1, 0
	v_mad_u64_u32 v[10:11], null, v6, v5, 0
	;; [unrolled: 1-line block ×3, first 2 shown]
	v_add_co_u32 v1, vcc_lo, v16, v10
	v_add_co_ci_u32_e32 v5, vcc_lo, 0, v11, vcc_lo
	v_add_co_u32 v1, vcc_lo, v1, v12
	v_add_co_ci_u32_e32 v1, vcc_lo, v5, v13, vcc_lo
	v_add_co_ci_u32_e32 v5, vcc_lo, 0, v15, vcc_lo
	v_add_co_u32 v1, vcc_lo, v1, v14
	v_add_co_ci_u32_e32 v5, vcc_lo, 0, v5, vcc_lo
	v_mul_lo_u32 v12, s29, v1
	v_mad_u64_u32 v[10:11], null, s28, v1, 0
	v_mul_lo_u32 v13, s28, v5
	v_sub_co_u32 v10, vcc_lo, v6, v10
	v_add3_u32 v11, v11, v13, v12
	v_sub_nc_u32_e32 v12, v7, v11
	v_subrev_co_ci_u32_e64 v12, s0, s29, v12, vcc_lo
	v_add_co_u32 v13, s0, v1, 2
	v_add_co_ci_u32_e64 v14, s0, 0, v5, s0
	v_sub_co_u32 v15, s0, v10, s28
	v_sub_co_ci_u32_e32 v11, vcc_lo, v7, v11, vcc_lo
	v_subrev_co_ci_u32_e64 v12, s0, 0, v12, s0
	v_cmp_le_u32_e32 vcc_lo, s28, v15
	v_cmp_eq_u32_e64 s0, s29, v11
	v_cndmask_b32_e64 v15, 0, -1, vcc_lo
	v_cmp_le_u32_e32 vcc_lo, s29, v12
	v_cndmask_b32_e64 v16, 0, -1, vcc_lo
	v_cmp_le_u32_e32 vcc_lo, s28, v10
	v_cndmask_b32_e64 v10, 0, -1, vcc_lo
	v_cmp_le_u32_e32 vcc_lo, s29, v11
	v_cndmask_b32_e64 v17, 0, -1, vcc_lo
	v_cmp_eq_u32_e32 vcc_lo, s29, v12
	v_cndmask_b32_e64 v10, v17, v10, s0
	v_cndmask_b32_e32 v12, v16, v15, vcc_lo
	v_add_co_u32 v15, vcc_lo, v1, 1
	v_add_co_ci_u32_e32 v16, vcc_lo, 0, v5, vcc_lo
	v_cmp_ne_u32_e32 vcc_lo, 0, v12
	v_cndmask_b32_e32 v11, v16, v14, vcc_lo
	v_cndmask_b32_e32 v12, v15, v13, vcc_lo
	v_cmp_ne_u32_e32 vcc_lo, 0, v10
	v_cndmask_b32_e32 v11, v5, v11, vcc_lo
	v_cndmask_b32_e32 v10, v1, v12, vcc_lo
.LBB0_4:                                ;   in Loop: Header=BB0_2 Depth=1
	s_andn2_saveexec_b32 s0, s1
	s_cbranch_execz .LBB0_6
; %bb.5:                                ;   in Loop: Header=BB0_2 Depth=1
	v_cvt_f32_u32_e32 v1, s28
	s_sub_i32 s1, 0, s28
	v_rcp_iflag_f32_e32 v1, v1
	v_mul_f32_e32 v1, 0x4f7ffffe, v1
	v_cvt_u32_f32_e32 v1, v1
	v_mul_lo_u32 v5, s1, v1
	v_mul_hi_u32 v5, v1, v5
	v_add_nc_u32_e32 v1, v1, v5
	v_mul_hi_u32 v1, v6, v1
	v_mul_lo_u32 v5, v1, s28
	v_add_nc_u32_e32 v10, 1, v1
	v_sub_nc_u32_e32 v5, v6, v5
	v_subrev_nc_u32_e32 v11, s28, v5
	v_cmp_le_u32_e32 vcc_lo, s28, v5
	v_cndmask_b32_e32 v5, v5, v11, vcc_lo
	v_cndmask_b32_e32 v1, v1, v10, vcc_lo
	v_mov_b32_e32 v11, v4
	v_cmp_le_u32_e32 vcc_lo, s28, v5
	v_add_nc_u32_e32 v10, 1, v1
	v_cndmask_b32_e32 v10, v1, v10, vcc_lo
.LBB0_6:                                ;   in Loop: Header=BB0_2 Depth=1
	s_or_b32 exec_lo, exec_lo, s0
	v_mul_lo_u32 v1, v11, s28
	v_mul_lo_u32 v5, v10, s29
	s_load_dwordx2 s[0:1], s[22:23], 0x0
	v_mad_u64_u32 v[12:13], null, v10, s28, 0
	s_load_dwordx2 s[28:29], s[6:7], 0x0
	s_add_u32 s26, s26, 1
	s_addc_u32 s27, s27, 0
	s_add_u32 s6, s6, 8
	s_addc_u32 s7, s7, 0
	s_add_u32 s22, s22, 8
	v_add3_u32 v1, v13, v5, v1
	v_sub_co_u32 v5, vcc_lo, v6, v12
	s_addc_u32 s23, s23, 0
	s_add_u32 s24, s24, 8
	v_sub_co_ci_u32_e32 v1, vcc_lo, v7, v1, vcc_lo
	s_addc_u32 s25, s25, 0
	s_waitcnt lgkmcnt(0)
	v_mul_lo_u32 v6, s0, v1
	v_mul_lo_u32 v7, s1, v5
	v_mad_u64_u32 v[2:3], null, s0, v5, v[2:3]
	v_mul_lo_u32 v1, s28, v1
	v_mul_lo_u32 v12, s29, v5
	v_mad_u64_u32 v[8:9], null, s28, v5, v[8:9]
	v_cmp_ge_u64_e64 s0, s[26:27], s[10:11]
	v_add3_u32 v3, v7, v3, v6
	v_add3_u32 v9, v12, v9, v1
	s_and_b32 vcc_lo, exec_lo, s0
	s_cbranch_vccnz .LBB0_9
; %bb.7:                                ;   in Loop: Header=BB0_2 Depth=1
	v_mov_b32_e32 v6, v10
	v_mov_b32_e32 v7, v11
	s_branch .LBB0_2
.LBB0_8:
	v_mov_b32_e32 v9, v3
	v_mov_b32_e32 v11, v7
	;; [unrolled: 1-line block ×4, first 2 shown]
.LBB0_9:
	s_load_dwordx2 s[0:1], s[4:5], 0x28
	v_mul_hi_u32 v5, 0x2d82d83, v0
	s_lshl_b64 s[6:7], s[10:11], 3
                                        ; implicit-def: $vgpr28
                                        ; implicit-def: $vgpr30
                                        ; implicit-def: $vgpr26
                                        ; implicit-def: $vgpr29
	s_add_u32 s4, s18, s6
	s_addc_u32 s5, s19, s7
	s_waitcnt lgkmcnt(0)
	v_cmp_gt_u64_e32 vcc_lo, s[0:1], v[10:11]
	v_cmp_le_u64_e64 s0, s[0:1], v[10:11]
	s_and_saveexec_b32 s1, s0
	s_xor_b32 s0, exec_lo, s1
; %bb.10:
	v_mul_u32_u24_e32 v1, 0x5a, v5
                                        ; implicit-def: $vgpr5
                                        ; implicit-def: $vgpr2_vgpr3
	v_sub_nc_u32_e32 v28, v0, v1
                                        ; implicit-def: $vgpr0
	v_add_nc_u32_e32 v30, 0x5a, v28
	v_add_nc_u32_e32 v26, 0xb4, v28
	;; [unrolled: 1-line block ×3, first 2 shown]
; %bb.11:
	s_or_saveexec_b32 s1, s0
                                        ; implicit-def: $vgpr13
                                        ; implicit-def: $vgpr23
                                        ; implicit-def: $vgpr15
                                        ; implicit-def: $vgpr21
                                        ; implicit-def: $vgpr17
                                        ; implicit-def: $vgpr25
                                        ; implicit-def: $vgpr6
                                        ; implicit-def: $vgpr19
                                        ; implicit-def: $vgpr4
                                        ; implicit-def: $vgpr1
	s_xor_b32 exec_lo, exec_lo, s1
	s_cbranch_execz .LBB0_13
; %bb.12:
	s_add_u32 s6, s16, s6
	s_addc_u32 s7, s17, s7
	v_mul_u32_u24_e32 v1, 0x5a, v5
	s_load_dwordx2 s[6:7], s[6:7], 0x0
	v_sub_nc_u32_e32 v28, v0, v1
	v_lshlrev_b64 v[0:1], 3, v[2:3]
	v_add_nc_u32_e32 v30, 0x5a, v28
	v_mad_u64_u32 v[2:3], null, s20, v28, 0
	v_add_nc_u32_e32 v26, 0xb4, v28
	v_add_nc_u32_e32 v29, 0x10e, v28
	v_mad_u64_u32 v[4:5], null, s20, v30, 0
	v_add_nc_u32_e32 v22, 0x168, v28
	v_mad_u64_u32 v[6:7], null, s20, v26, 0
	v_mad_u64_u32 v[14:15], null, s20, v29, 0
	s_waitcnt lgkmcnt(0)
	v_mul_lo_u32 v18, s7, v10
	v_mul_lo_u32 v19, s6, v11
	v_mad_u64_u32 v[12:13], null, s6, v10, 0
	v_mad_u64_u32 v[16:17], null, s21, v28, v[3:4]
	v_mov_b32_e32 v3, v5
	v_mov_b32_e32 v5, v7
	;; [unrolled: 1-line block ×3, first 2 shown]
	v_mad_u64_u32 v[20:21], null, s20, v22, 0
	v_add3_u32 v13, v13, v19, v18
	v_mad_u64_u32 v[17:18], null, s21, v30, v[3:4]
	v_mov_b32_e32 v3, v16
	v_mad_u64_u32 v[18:19], null, s21, v29, v[7:8]
	v_lshlrev_b64 v[12:13], 3, v[12:13]
	v_mad_u64_u32 v[15:16], null, s21, v26, v[5:6]
	v_mov_b32_e32 v5, v17
	v_lshlrev_b64 v[2:3], 3, v[2:3]
	v_add_nc_u32_e32 v25, 0x21c, v28
	v_add_co_u32 v7, s0, s12, v12
	v_add_co_ci_u32_e64 v12, s0, s13, v13, s0
	v_mad_u64_u32 v[16:17], null, s20, v25, 0
	v_add_co_u32 v37, s0, v7, v0
	v_add_co_ci_u32_e64 v38, s0, v12, v1, s0
	v_lshlrev_b64 v[0:1], 3, v[4:5]
	v_add_co_u32 v2, s0, v37, v2
	v_add_co_ci_u32_e64 v3, s0, v38, v3, s0
	v_mov_b32_e32 v7, v15
	v_mov_b32_e32 v15, v18
	v_add_co_u32 v4, s0, v37, v0
	v_mov_b32_e32 v0, v21
	v_add_nc_u32_e32 v18, 0x1c2, v28
	v_add_co_ci_u32_e64 v5, s0, v38, v1, s0
	v_lshlrev_b64 v[6:7], 3, v[6:7]
	v_lshlrev_b64 v[12:13], 3, v[14:15]
	v_mad_u64_u32 v[0:1], null, s21, v22, v[0:1]
	v_mad_u64_u32 v[14:15], null, s20, v18, 0
	v_add_co_u32 v6, s0, v37, v6
	v_add_co_ci_u32_e64 v7, s0, v38, v7, s0
	v_mov_b32_e32 v21, v0
	v_add_co_u32 v12, s0, v37, v12
	v_mov_b32_e32 v0, v15
	v_add_co_ci_u32_e64 v13, s0, v38, v13, s0
	v_add_nc_u32_e32 v31, 0x276, v28
	v_add_nc_u32_e32 v35, 0x32a, v28
	v_mad_u64_u32 v[22:23], null, s21, v18, v[0:1]
	s_clause 0x3
	global_load_dwordx2 v[0:1], v[2:3], off
	global_load_dwordx2 v[3:4], v[4:5], off
	;; [unrolled: 1-line block ×4, first 2 shown]
	v_mad_u64_u32 v[23:24], null, s20, v31, 0
	v_mov_b32_e32 v2, v17
	v_add_nc_u32_e32 v7, 0x2d0, v28
	v_lshlrev_b64 v[12:13], 3, v[20:21]
	v_mov_b32_e32 v15, v22
	v_lshlrev_b64 v[14:15], 3, v[14:15]
	v_add_co_u32 v12, s0, v37, v12
	v_add_co_ci_u32_e64 v13, s0, v38, v13, s0
	v_add_co_u32 v14, s0, v37, v14
	v_add_co_ci_u32_e64 v15, s0, v38, v15, s0
	s_waitcnt vmcnt(2)
	v_mad_u64_u32 v[20:21], null, s21, v25, v[2:3]
	v_mov_b32_e32 v2, v24
	v_mad_u64_u32 v[21:22], null, s20, v7, 0
	v_mad_u64_u32 v[24:25], null, s21, v31, v[2:3]
	;; [unrolled: 1-line block ×3, first 2 shown]
	v_mov_b32_e32 v2, v22
	v_mov_b32_e32 v17, v20
	v_lshlrev_b64 v[23:24], 3, v[23:24]
	v_mad_u64_u32 v[33:34], null, s21, v7, v[2:3]
	v_mov_b32_e32 v2, v32
	v_lshlrev_b64 v[16:17], 3, v[16:17]
	v_mad_u64_u32 v[34:35], null, s21, v35, v[2:3]
	v_mov_b32_e32 v22, v33
	v_add_co_u32 v35, s0, v37, v16
	v_add_co_ci_u32_e64 v36, s0, v38, v17, s0
	v_lshlrev_b64 v[16:17], 3, v[21:22]
	v_mov_b32_e32 v32, v34
	v_add_co_u32 v22, s0, v37, v23
	v_add_co_ci_u32_e64 v23, s0, v38, v24, s0
	v_lshlrev_b64 v[20:21], 3, v[31:32]
	v_add_co_u32 v31, s0, v37, v16
	v_add_co_ci_u32_e64 v32, s0, v38, v17, s0
	v_add_co_u32 v33, s0, v37, v20
	v_add_co_ci_u32_e64 v34, s0, v38, v21, s0
	s_clause 0x5
	global_load_dwordx2 v[24:25], v[12:13], off
	global_load_dwordx2 v[16:17], v[14:15], off
	;; [unrolled: 1-line block ×6, first 2 shown]
.LBB0_13:
	s_or_b32 exec_lo, exec_lo, s1
	s_waitcnt vmcnt(3)
	v_add_f32_e32 v2, v20, v24
	v_add_f32_e32 v7, v18, v0
	s_waitcnt vmcnt(1)
	v_sub_f32_e32 v31, v19, v23
	v_add_f32_e32 v35, v22, v18
	v_sub_f32_e32 v32, v25, v21
	v_fma_f32 v33, -0.5, v2, v0
	v_add_f32_e32 v7, v24, v7
	v_sub_f32_e32 v2, v18, v24
	v_sub_f32_e32 v34, v22, v20
	v_fmac_f32_e32 v0, -0.5, v35
	v_fmamk_f32 v36, v31, 0x3f737871, v33
	v_add_f32_e32 v7, v20, v7
	v_fmac_f32_e32 v33, 0xbf737871, v31
	v_add_f32_e32 v38, v19, v1
	v_add_f32_e32 v39, v21, v25
	;; [unrolled: 1-line block ×3, first 2 shown]
	v_fmac_f32_e32 v36, 0x3f167918, v32
	v_add_f32_e32 v7, v22, v7
	v_fmamk_f32 v34, v32, 0xbf737871, v0
	v_sub_f32_e32 v35, v24, v18
	v_sub_f32_e32 v37, v20, v22
	v_fmac_f32_e32 v33, 0xbf167918, v32
	v_fmac_f32_e32 v0, 0x3f737871, v32
	v_add_f32_e32 v32, v25, v38
	v_fma_f32 v38, -0.5, v39, v1
	v_sub_f32_e32 v18, v18, v22
	v_add_f32_e32 v22, v23, v19
	v_fmac_f32_e32 v36, 0x3e9e377a, v2
	v_fmac_f32_e32 v34, 0x3f167918, v31
	v_add_f32_e32 v35, v37, v35
	v_fmac_f32_e32 v33, 0x3e9e377a, v2
	v_fmac_f32_e32 v0, 0xbf167918, v31
	v_add_f32_e32 v2, v21, v32
	v_fmamk_f32 v31, v18, 0xbf737871, v38
	v_sub_f32_e32 v20, v24, v20
	v_sub_f32_e32 v24, v19, v25
	;; [unrolled: 1-line block ×3, first 2 shown]
	v_fmac_f32_e32 v1, -0.5, v22
	v_fmac_f32_e32 v38, 0x3f737871, v18
	v_sub_f32_e32 v19, v25, v19
	v_sub_f32_e32 v21, v21, v23
	v_add_f32_e32 v22, v14, v16
	v_fmac_f32_e32 v34, 0x3e9e377a, v35
	v_fmac_f32_e32 v0, 0x3e9e377a, v35
	v_add_f32_e32 v35, v23, v2
	v_fmac_f32_e32 v31, 0xbf167918, v20
	v_add_f32_e32 v2, v32, v24
	v_fmamk_f32 v32, v20, 0x3f737871, v1
	v_fmac_f32_e32 v38, 0x3f167918, v20
	v_add_f32_e32 v19, v21, v19
	v_fmac_f32_e32 v1, 0xbf737871, v20
	v_add_f32_e32 v20, v5, v3
	v_fma_f32 v21, -0.5, v22, v3
	s_waitcnt vmcnt(0)
	v_sub_f32_e32 v22, v6, v13
	v_fmac_f32_e32 v31, 0x3e9e377a, v2
	v_fmac_f32_e32 v32, 0xbf167918, v18
	;; [unrolled: 1-line block ×4, first 2 shown]
	v_add_f32_e32 v2, v16, v20
	v_fmamk_f32 v18, v22, 0x3f737871, v21
	v_sub_f32_e32 v20, v17, v15
	v_sub_f32_e32 v23, v5, v16
	;; [unrolled: 1-line block ×3, first 2 shown]
	v_fmac_f32_e32 v21, 0xbf737871, v22
	v_add_f32_e32 v25, v12, v5
	v_fmac_f32_e32 v18, 0x3f167918, v20
	v_add_f32_e32 v2, v14, v2
	v_add_f32_e32 v23, v24, v23
	v_fmac_f32_e32 v21, 0xbf167918, v20
	v_fmac_f32_e32 v3, -0.5, v25
	v_fmac_f32_e32 v32, 0x3e9e377a, v19
	v_fmac_f32_e32 v1, 0x3e9e377a, v19
	;; [unrolled: 1-line block ×4, first 2 shown]
	v_add_f32_e32 v23, v15, v17
	v_add_f32_e32 v19, v12, v2
	v_fmamk_f32 v2, v20, 0xbf737871, v3
	v_sub_f32_e32 v24, v16, v5
	v_sub_f32_e32 v25, v14, v12
	v_fmac_f32_e32 v3, 0x3f737871, v20
	v_fma_f32 v20, -0.5, v23, v4
	v_add_f32_e32 v23, v13, v6
	v_fmac_f32_e32 v2, 0x3f167918, v22
	v_sub_f32_e32 v5, v5, v12
	v_add_f32_e32 v12, v25, v24
	v_fmac_f32_e32 v3, 0xbf167918, v22
	v_add_f32_e32 v22, v6, v4
	v_sub_f32_e32 v14, v16, v14
	v_fmac_f32_e32 v4, -0.5, v23
	v_and_b32_e32 v27, 1, v27
	v_fmamk_f32 v24, v5, 0xbf737871, v20
	v_fmac_f32_e32 v2, 0x3e9e377a, v12
	v_fmac_f32_e32 v3, 0x3e9e377a, v12
	v_add_f32_e32 v12, v17, v22
	v_sub_f32_e32 v16, v6, v17
	v_sub_f32_e32 v22, v13, v15
	v_fmamk_f32 v23, v14, 0x3f737871, v4
	v_sub_f32_e32 v6, v17, v6
	v_sub_f32_e32 v17, v15, v13
	v_fmac_f32_e32 v4, 0xbf737871, v14
	v_fmac_f32_e32 v20, 0x3f737871, v5
	v_cmp_eq_u32_e64 s0, 1, v27
	v_fmac_f32_e32 v24, 0xbf167918, v14
	v_add_f32_e32 v16, v22, v16
	v_fmac_f32_e32 v23, 0xbf167918, v5
	v_add_f32_e32 v6, v17, v6
	v_fmac_f32_e32 v4, 0x3f167918, v5
	v_fmac_f32_e32 v20, 0x3f167918, v14
	v_cndmask_b32_e64 v27, 0, 0x384, s0
	v_fmac_f32_e32 v24, 0x3e9e377a, v16
	v_fmac_f32_e32 v23, 0x3e9e377a, v6
	;; [unrolled: 1-line block ×3, first 2 shown]
	v_mul_f32_e32 v22, 0x3f4f1bbd, v18
	v_mul_f32_e32 v25, 0x3e9e377a, v2
	v_mul_f32_e32 v6, 0x3e9e377a, v3
	v_fmac_f32_e32 v20, 0x3e9e377a, v16
	v_mul_f32_e32 v14, 0x3f4f1bbd, v21
	v_add_f32_e32 v5, v15, v12
	v_fmac_f32_e32 v22, 0x3f167918, v24
	v_fmac_f32_e32 v25, 0x3f737871, v23
	v_fma_f32 v39, 0x3f737871, v4, -v6
	v_fma_f32 v40, 0x3f167918, v20, -v14
	v_mul_f32_e32 v42, 0xbf737871, v2
	v_mul_f32_e32 v4, 0x3e9e377a, v4
	;; [unrolled: 1-line block ×3, first 2 shown]
	v_lshlrev_b32_e32 v20, 2, v27
	v_add_f32_e32 v37, v13, v5
	v_add_f32_e32 v5, v19, v7
	;; [unrolled: 1-line block ×5, first 2 shown]
	v_fmac_f32_e32 v42, 0x3e9e377a, v23
	v_fma_f32 v4, 0xbf737871, v3, -v4
	v_fma_f32 v43, 0xbf167918, v21, -v14
	v_sub_f32_e32 v3, v7, v19
	v_sub_f32_e32 v21, v36, v22
	;; [unrolled: 1-line block ×3, first 2 shown]
	v_mul_u32_u24_e32 v7, 10, v28
	v_add_nc_u32_e32 v25, 0, v20
	v_sub_f32_e32 v23, v0, v39
	v_and_b32_e32 v0, 0xff, v28
	v_mul_f32_e32 v41, 0xbf167918, v18
	v_add_f32_e32 v2, v33, v40
	v_lshl_add_u32 v39, v7, 2, v25
	s_load_dwordx2 s[4:5], s[4:5], 0x0
	v_mul_lo_u16 v0, 0xcd, v0
	v_fmac_f32_e32 v41, 0x3f4f1bbd, v24
	v_sub_f32_e32 v24, v33, v40
	ds_write2_b64 v39, v[5:6], v[12:13] offset1:1
	ds_write2_b64 v39, v[2:3], v[21:22] offset0:2 offset1:3
	ds_write_b64 v39, v[23:24] offset:32
	v_lshrrev_b16 v12, 11, v0
	v_mad_i32_i24 v27, 0xffffffdc, v28, v39
	v_add_f32_e32 v14, v37, v35
	v_add_f32_e32 v15, v31, v41
	;; [unrolled: 1-line block ×3, first 2 shown]
	v_mul_lo_u16 v2, v12, 10
	v_add_f32_e32 v17, v1, v4
	v_sub_f32_e32 v19, v35, v37
	v_sub_f32_e32 v37, v1, v4
	v_lshl_add_u32 v34, v28, 2, v25
	v_sub_nc_u16 v22, v28, v2
	v_mov_b32_e32 v2, 9
	v_add_nc_u32_e32 v1, 0x400, v27
	v_add_f32_e32 v18, v38, v43
	v_sub_f32_e32 v31, v31, v41
	v_sub_f32_e32 v32, v32, v42
	v_mul_u32_u24_sdwa v2, v22, v2 dst_sel:DWORD dst_unused:UNUSED_PAD src0_sel:BYTE_0 src1_sel:DWORD
	v_lshl_add_u32 v35, v30, 2, v25
	v_add_nc_u32_e32 v13, 0x800, v27
	v_lshl_add_u32 v36, v26, 2, v25
	v_add_nc_u32_e32 v0, 0xa00, v27
	v_lshl_add_u32 v33, v29, 2, v25
	v_sub_f32_e32 v38, v38, v43
	s_waitcnt lgkmcnt(0)
	s_barrier
	buffer_gl0_inv
	ds_read_b32 v21, v34
	ds_read_b32 v23, v35
	;; [unrolled: 1-line block ×4, first 2 shown]
	ds_read2_b32 v[6:7], v1 offset0:104 offset1:194
	ds_read2_b32 v[54:55], v13 offset0:28 offset1:118
	;; [unrolled: 1-line block ×3, first 2 shown]
	s_waitcnt lgkmcnt(0)
	s_barrier
	buffer_gl0_inv
	ds_write2_b64 v39, v[14:15], v[16:17] offset1:1
	ds_write2_b64 v39, v[18:19], v[31:32] offset0:2 offset1:3
	v_lshlrev_b32_e32 v14, 3, v2
	ds_write_b64 v39, v[37:38] offset:32
	s_waitcnt lgkmcnt(0)
	s_barrier
	buffer_gl0_inv
	s_clause 0x4
	global_load_dwordx4 v[2:5], v14, s[8:9]
	global_load_dwordx4 v[41:44], v14, s[8:9] offset:16
	global_load_dwordx4 v[45:48], v14, s[8:9] offset:32
	;; [unrolled: 1-line block ×3, first 2 shown]
	global_load_dwordx2 v[18:19], v14, s[8:9] offset:64
	v_and_b32_e32 v12, 0xffff, v12
	v_mov_b32_e32 v14, 2
	ds_read_b32 v16, v35
	ds_read_b32 v31, v36
	;; [unrolled: 1-line block ×3, first 2 shown]
	ds_read2_b32 v[58:59], v1 offset0:104 offset1:194
	v_mad_u32_u24 v12, 0x190, v12, 0
	v_lshlrev_b32_sdwa v14, v14, v22 dst_sel:DWORD dst_unused:UNUSED_PAD src0_sel:DWORD src1_sel:BYTE_0
	ds_read2_b32 v[60:61], v13 offset0:28 offset1:118
	v_add_nc_u32_e32 v13, 0x600, v27
	v_cmp_gt_u32_e64 s0, 30, v28
	v_add3_u32 v12, v12, v14, v20
	ds_read_b32 v14, v34
	ds_read2_b32 v[62:63], v0 offset0:80 offset1:170
	s_waitcnt vmcnt(0) lgkmcnt(0)
	s_barrier
	buffer_gl0_inv
	v_mul_f32_e32 v15, v16, v3
	v_mul_f32_e32 v17, v23, v3
	;; [unrolled: 1-line block ×8, first 2 shown]
	v_fma_f32 v15, v23, v2, -v15
	v_mul_f32_e32 v44, v59, v46
	v_fmac_f32_e32 v17, v16, v2
	v_mul_f32_e32 v23, v7, v46
	v_fma_f32 v46, v24, v4, -v3
	v_mul_f32_e32 v2, v60, v48
	v_fmac_f32_e32 v32, v31, v4
	v_mul_f32_e32 v24, v55, v51
	v_mul_f32_e32 v4, v62, v53
	;; [unrolled: 1-line block ×3, first 2 shown]
	v_fma_f32 v5, v25, v41, -v5
	v_mul_f32_e32 v25, v63, v19
	v_mul_f32_e32 v16, v57, v19
	v_fma_f32 v42, v6, v43, -v42
	v_fma_f32 v6, v7, v45, -v44
	v_fmac_f32_e32 v23, v59, v45
	v_fma_f32 v44, v54, v47, -v2
	v_fmac_f32_e32 v24, v61, v50
	v_fma_f32 v51, v56, v52, -v4
	v_mul_f32_e32 v39, v54, v48
	v_fmac_f32_e32 v22, v37, v41
	v_fma_f32 v2, v55, v50, -v3
	v_fma_f32 v3, v57, v18, -v25
	v_fmac_f32_e32 v16, v63, v18
	v_mul_f32_e32 v40, v56, v53
	v_fmac_f32_e32 v38, v58, v43
	v_sub_f32_e32 v25, v46, v42
	v_sub_f32_e32 v31, v51, v44
	;; [unrolled: 1-line block ×4, first 2 shown]
	v_add_f32_e32 v56, v23, v24
	v_fmac_f32_e32 v39, v60, v47
	v_add_f32_e32 v45, v15, v5
	v_add_f32_e32 v47, v6, v2
	v_add_f32_e32 v50, v5, v3
	v_add_f32_e32 v60, v22, v16
	v_sub_f32_e32 v48, v5, v6
	v_sub_f32_e32 v54, v6, v5
	;; [unrolled: 1-line block ×3, first 2 shown]
	v_add_f32_e32 v25, v25, v31
	v_add_f32_e32 v31, v41, v43
	v_fma_f32 v43, -0.5, v56, v17
	v_add_f32_e32 v7, v42, v44
	v_add_f32_e32 v37, v46, v51
	v_sub_f32_e32 v53, v23, v24
	v_sub_f32_e32 v49, v3, v2
	;; [unrolled: 1-line block ×3, first 2 shown]
	v_add_f32_e32 v6, v45, v6
	v_fma_f32 v41, -0.5, v47, v15
	v_fmac_f32_e32 v15, -0.5, v50
	v_fma_f32 v45, -0.5, v60, v17
	v_fmac_f32_e32 v40, v62, v52
	v_sub_f32_e32 v52, v22, v16
	v_sub_f32_e32 v55, v2, v3
	v_sub_f32_e32 v58, v22, v23
	v_sub_f32_e32 v59, v16, v24
	v_fmamk_f32 v47, v5, 0xbf737871, v43
	v_add_f32_e32 v4, v21, v46
	v_sub_f32_e32 v61, v23, v22
	v_sub_f32_e32 v62, v24, v16
	v_fma_f32 v7, -0.5, v7, v21
	v_fmac_f32_e32 v21, -0.5, v37
	v_add_f32_e32 v37, v48, v49
	v_fmamk_f32 v49, v53, 0xbf737871, v15
	v_fmac_f32_e32 v15, 0x3f737871, v53
	v_fmamk_f32 v48, v57, 0x3f737871, v45
	v_fmamk_f32 v50, v52, 0x3f737871, v41
	v_fmac_f32_e32 v41, 0xbf737871, v52
	v_sub_f32_e32 v18, v32, v40
	v_add_f32_e32 v54, v54, v55
	v_add_f32_e32 v55, v58, v59
	v_fmac_f32_e32 v47, 0xbf167918, v57
	v_sub_f32_e32 v19, v38, v39
	v_add_f32_e32 v56, v61, v62
	v_fmac_f32_e32 v45, 0xbf737871, v57
	v_fmac_f32_e32 v15, 0xbf167918, v52
	v_fmac_f32_e32 v48, 0xbf167918, v5
	v_fmac_f32_e32 v43, 0x3f737871, v5
	v_fmac_f32_e32 v41, 0xbf167918, v53
	v_add_f32_e32 v4, v4, v42
	v_fmamk_f32 v58, v18, 0x3f737871, v7
	v_add_f32_e32 v2, v6, v2
	v_fmac_f32_e32 v50, 0x3f167918, v53
	v_fmac_f32_e32 v47, 0x3e9e377a, v55
	v_fmamk_f32 v59, v19, 0xbf737871, v21
	v_fmac_f32_e32 v21, 0x3f737871, v19
	v_fmac_f32_e32 v49, 0x3f167918, v52
	v_fmac_f32_e32 v45, 0x3f167918, v5
	v_fmac_f32_e32 v48, 0x3e9e377a, v56
	v_fmac_f32_e32 v15, 0x3e9e377a, v54
	v_fmac_f32_e32 v7, 0xbf737871, v18
	v_fmac_f32_e32 v43, 0x3f167918, v57
	v_fmac_f32_e32 v41, 0x3e9e377a, v37
	v_add_f32_e32 v4, v4, v44
	v_fmac_f32_e32 v58, 0x3f167918, v19
	v_add_f32_e32 v2, v2, v3
	v_fmac_f32_e32 v50, 0x3e9e377a, v37
	v_mul_f32_e32 v3, 0x3f167918, v47
	v_fmac_f32_e32 v59, 0x3f167918, v18
	v_fmac_f32_e32 v21, 0xbf167918, v18
	;; [unrolled: 1-line block ×4, first 2 shown]
	v_mul_f32_e32 v5, 0x3f737871, v48
	v_mul_f32_e32 v6, 0x3e9e377a, v15
	v_fmac_f32_e32 v7, 0xbf167918, v19
	v_fmac_f32_e32 v43, 0x3e9e377a, v55
	v_mul_f32_e32 v18, 0x3f4f1bbd, v41
	v_add_f32_e32 v4, v4, v51
	v_fmac_f32_e32 v58, 0x3e9e377a, v25
	v_fmac_f32_e32 v3, 0x3f4f1bbd, v50
	v_fmac_f32_e32 v59, 0x3e9e377a, v31
	v_fmac_f32_e32 v21, 0x3e9e377a, v31
	v_fmac_f32_e32 v5, 0x3e9e377a, v49
	v_fma_f32 v6, 0x3f737871, v45, -v6
	v_fmac_f32_e32 v7, 0x3e9e377a, v25
	v_fma_f32 v18, 0x3f167918, v43, -v18
	v_add_f32_e32 v19, v4, v2
	v_sub_f32_e32 v2, v4, v2
	v_add_f32_e32 v4, v58, v3
	v_add_f32_e32 v25, v59, v5
	;; [unrolled: 1-line block ×4, first 2 shown]
	v_sub_f32_e32 v3, v58, v3
	v_sub_f32_e32 v5, v59, v5
	;; [unrolled: 1-line block ×4, first 2 shown]
	ds_write2_b32 v12, v19, v4 offset1:10
	ds_write2_b32 v12, v25, v37 offset0:20 offset1:30
	ds_write2_b32 v12, v52, v2 offset0:40 offset1:50
	;; [unrolled: 1-line block ×4, first 2 shown]
	s_waitcnt lgkmcnt(0)
	s_barrier
	buffer_gl0_inv
	ds_read2_b32 v[6:7], v1 offset0:44 offset1:134
	ds_read2_b32 v[2:3], v13 offset0:96 offset1:216
	;; [unrolled: 1-line block ×3, first 2 shown]
	ds_read_b32 v21, v34
	ds_read_b32 v19, v35
	;; [unrolled: 1-line block ×3, first 2 shown]
                                        ; implicit-def: $vgpr25
                                        ; implicit-def: $vgpr37
	s_and_saveexec_b32 s1, s0
	s_cbranch_execz .LBB0_15
; %bb.14:
	ds_read_b32 v31, v33
	ds_read_b32 v37, v27 offset:2280
	ds_read_b32 v25, v27 offset:3480
.LBB0_15:
	s_or_b32 exec_lo, exec_lo, s1
	v_add_f32_e32 v53, v38, v39
	v_add_f32_e32 v54, v32, v40
	v_add_f32_e32 v52, v14, v32
	v_sub_f32_e32 v42, v42, v44
	v_sub_f32_e32 v46, v46, v51
	v_fma_f32 v53, -0.5, v53, v14
	v_fmac_f32_e32 v14, -0.5, v54
	v_sub_f32_e32 v51, v32, v38
	v_add_f32_e32 v52, v52, v38
	v_sub_f32_e32 v32, v38, v32
	v_sub_f32_e32 v38, v39, v40
	v_fmamk_f32 v54, v42, 0x3f737871, v14
	v_fmac_f32_e32 v14, 0xbf737871, v42
	v_add_f32_e32 v17, v17, v22
	v_sub_f32_e32 v55, v40, v39
	v_add_f32_e32 v44, v52, v39
	v_fmamk_f32 v52, v46, 0xbf737871, v53
	v_fmac_f32_e32 v54, 0xbf167918, v46
	v_add_f32_e32 v22, v32, v38
	v_fmac_f32_e32 v14, 0x3f167918, v46
	v_add_f32_e32 v17, v17, v23
	;; [unrolled: 2-line block ×3, first 2 shown]
	v_fmac_f32_e32 v52, 0xbf167918, v42
	v_fmac_f32_e32 v54, 0x3e9e377a, v22
	;; [unrolled: 1-line block ×3, first 2 shown]
	v_add_f32_e32 v17, v17, v24
	v_mul_f32_e32 v22, 0xbf167918, v50
	v_mul_f32_e32 v23, 0xbf737871, v49
	;; [unrolled: 1-line block ×3, first 2 shown]
	v_fmac_f32_e32 v53, 0x3f167918, v42
	v_mul_f32_e32 v32, 0x3f4f1bbd, v43
	v_add_f32_e32 v44, v44, v40
	v_fmac_f32_e32 v52, 0x3e9e377a, v51
	v_add_f32_e32 v16, v17, v16
	v_fmac_f32_e32 v22, 0x3f4f1bbd, v47
	v_fmac_f32_e32 v23, 0x3e9e377a, v48
	v_fma_f32 v15, 0xbf737871, v15, -v24
	v_fmac_f32_e32 v53, 0x3e9e377a, v51
	v_fma_f32 v17, 0xbf167918, v41, -v32
	v_add_f32_e32 v24, v44, v16
	v_add_f32_e32 v38, v52, v22
	;; [unrolled: 1-line block ×5, first 2 shown]
	v_sub_f32_e32 v16, v44, v16
	v_sub_f32_e32 v22, v52, v22
	;; [unrolled: 1-line block ×5, first 2 shown]
	s_waitcnt lgkmcnt(0)
	s_barrier
	buffer_gl0_inv
	ds_write2_b32 v12, v24, v38 offset1:10
	ds_write2_b32 v12, v39, v40 offset0:20 offset1:30
	ds_write2_b32 v12, v41, v16 offset0:40 offset1:50
	;; [unrolled: 1-line block ×4, first 2 shown]
	s_waitcnt lgkmcnt(0)
	s_barrier
	buffer_gl0_inv
	ds_read2_b32 v[16:17], v1 offset0:44 offset1:134
	ds_read2_b32 v[12:13], v13 offset0:96 offset1:216
	;; [unrolled: 1-line block ×3, first 2 shown]
	ds_read_b32 v24, v34
	ds_read_b32 v23, v35
	;; [unrolled: 1-line block ×3, first 2 shown]
                                        ; implicit-def: $vgpr38
                                        ; implicit-def: $vgpr39
	s_and_saveexec_b32 s1, s0
	s_cbranch_execz .LBB0_17
; %bb.16:
	ds_read_b32 v32, v33
	ds_read_b32 v39, v27 offset:2280
	ds_read_b32 v38, v27 offset:3480
.LBB0_17:
	s_or_b32 exec_lo, exec_lo, s1
	v_lshrrev_b16 v42, 2, v26
	v_mov_b32_e32 v43, 0x147b
	v_add_nc_u32_e32 v0, -10, v28
	v_cmp_gt_u32_e64 s1, 10, v28
	v_lshrrev_b16 v45, 2, v29
	v_lshlrev_b32_e32 v40, 1, v28
	v_mul_u32_u24_sdwa v42, v42, v43 dst_sel:DWORD dst_unused:UNUSED_PAD src0_sel:WORD_0 src1_sel:DWORD
	v_mov_b32_e32 v41, 0
	v_cndmask_b32_e64 v44, v0, v30, s1
	v_lshrrev_b32_e32 v46, 17, v42
	v_mul_u32_u24_sdwa v42, v45, v43 dst_sel:DWORD dst_unused:UNUSED_PAD src0_sel:WORD_0 src1_sel:DWORD
	v_lshlrev_b64 v[0:1], 3, v[40:41]
	v_lshlrev_b32_e32 v40, 1, v44
	v_mov_b32_e32 v45, 4
	v_mul_lo_u16 v43, 0x64, v46
	v_lshrrev_b32_e32 v42, 17, v42
	v_lshlrev_b64 v[40:41], 3, v[40:41]
	v_add_co_u32 v0, s1, s8, v0
	v_add_co_ci_u32_e64 v1, s1, s9, v1, s1
	v_mul_lo_u16 v42, 0x64, v42
	v_add_co_u32 v40, s1, s8, v40
	global_load_dwordx4 v[50:53], v[0:1], off offset:720
	v_add_co_ci_u32_e64 v41, s1, s9, v41, s1
	v_sub_nc_u16 v47, v26, v43
	v_sub_nc_u16 v42, v29, v42
	v_cmp_lt_u32_e64 s1, 9, v28
	global_load_dwordx4 v[54:57], v[40:41], off offset:720
	v_lshlrev_b32_e32 v43, 2, v44
	v_lshlrev_b32_sdwa v40, v45, v47 dst_sel:DWORD dst_unused:UNUSED_PAD src0_sel:DWORD src1_sel:WORD_0
	v_lshlrev_b32_sdwa v41, v45, v42 dst_sel:DWORD dst_unused:UNUSED_PAD src0_sel:DWORD src1_sel:WORD_0
	s_clause 0x1
	global_load_dwordx4 v[58:61], v40, s[8:9] offset:720
	global_load_dwordx4 v[62:65], v41, s[8:9] offset:720
	v_cndmask_b32_e64 v40, 0, 0x4b0, s1
	s_waitcnt vmcnt(0) lgkmcnt(0)
	s_barrier
	buffer_gl0_inv
	v_add_nc_u32_e32 v41, 0, v40
	v_mov_b32_e32 v40, 2
	v_add3_u32 v43, v41, v43, v20
	v_mad_u32_u24 v41, 0x4b0, v46, 0
	v_lshlrev_b32_sdwa v44, v40, v47 dst_sel:DWORD dst_unused:UNUSED_PAD src0_sel:DWORD src1_sel:WORD_0
	v_add3_u32 v44, v41, v44, v20
	v_mul_f32_e32 v48, v6, v51
	v_mul_f32_e32 v46, v16, v51
	;; [unrolled: 1-line block ×4, first 2 shown]
	v_fmac_f32_e32 v48, v16, v50
	v_mul_f32_e32 v16, v17, v55
	v_fma_f32 v49, v6, v50, -v46
	v_fma_f32 v50, v3, v52, -v47
	v_mul_f32_e32 v41, v14, v57
	v_fmac_f32_e32 v45, v13, v52
	v_fma_f32 v51, v7, v54, -v16
	v_mul_f32_e32 v66, v12, v59
	v_mul_f32_e32 v6, v2, v59
	;; [unrolled: 1-line block ×8, first 2 shown]
	v_add_f32_e32 v53, v21, v49
	v_add_f32_e32 v55, v49, v50
	v_mul_f32_e32 v46, v37, v63
	v_mul_f32_e32 v7, v25, v65
	v_fma_f32 v52, v4, v56, -v41
	v_fma_f32 v4, v37, v62, -v61
	;; [unrolled: 1-line block ×5, first 2 shown]
	v_sub_f32_e32 v57, v48, v45
	v_fmac_f32_e32 v47, v17, v54
	v_fmac_f32_e32 v13, v14, v56
	v_add_f32_e32 v14, v53, v50
	v_fmac_f32_e32 v21, -0.5, v55
	v_fmac_f32_e32 v46, v39, v62
	v_fmac_f32_e32 v7, v38, v64
	v_add_f32_e32 v16, v51, v52
	v_add_f32_e32 v53, v4, v25
	v_fmac_f32_e32 v6, v12, v58
	v_fmac_f32_e32 v3, v15, v60
	v_add_f32_e32 v38, v2, v5
	v_fmamk_f32 v12, v57, 0x3f5db3d7, v21
	v_add_f32_e32 v15, v19, v51
	v_sub_f32_e32 v17, v47, v13
	v_add_f32_e32 v37, v18, v2
	v_add_f32_e32 v41, v31, v4
	v_sub_f32_e32 v54, v46, v7
	v_fmac_f32_e32 v19, -0.5, v16
	v_fmac_f32_e32 v31, -0.5, v53
	v_fmac_f32_e32 v21, 0xbf5db3d7, v57
	v_sub_f32_e32 v39, v6, v3
	v_fmac_f32_e32 v18, -0.5, v38
	v_add_f32_e32 v15, v15, v52
	ds_write2_b32 v27, v14, v12 offset1:100
	ds_write_b32 v27, v21 offset:800
	v_add_f32_e32 v14, v37, v5
	v_add_f32_e32 v12, v41, v25
	v_fmamk_f32 v16, v17, 0x3f5db3d7, v19
	v_fmamk_f32 v37, v54, 0x3f5db3d7, v31
	v_fmac_f32_e32 v31, 0xbf5db3d7, v54
	v_fmac_f32_e32 v19, 0xbf5db3d7, v17
	v_fmamk_f32 v17, v39, 0x3f5db3d7, v18
	v_fmac_f32_e32 v18, 0xbf5db3d7, v39
	ds_write2_b32 v43, v15, v16 offset1:100
	ds_write_b32 v43, v19 offset:800
	ds_write2_b32 v44, v14, v17 offset1:100
	ds_write_b32 v44, v18 offset:800
	s_and_saveexec_b32 s1, s0
	s_cbranch_execz .LBB0_19
; %bb.18:
	v_lshlrev_b32_sdwa v14, v40, v42 dst_sel:DWORD dst_unused:UNUSED_PAD src0_sel:DWORD src1_sel:WORD_0
	v_add3_u32 v14, 0, v14, v20
	v_add_nc_u32_e32 v15, 0x800, v14
	ds_write2_b32 v15, v12, v37 offset0:88 offset1:188
	ds_write_b32 v14, v31 offset:3200
.LBB0_19:
	s_or_b32 exec_lo, exec_lo, s1
	v_add_nc_u32_e32 v14, 0x400, v27
	v_add_nc_u32_e32 v16, 0x600, v27
	;; [unrolled: 1-line block ×3, first 2 shown]
	s_waitcnt lgkmcnt(0)
	s_barrier
	buffer_gl0_inv
	ds_read2_b32 v[14:15], v14 offset0:44 offset1:134
	ds_read2_b32 v[18:19], v16 offset0:96 offset1:216
	;; [unrolled: 1-line block ×3, first 2 shown]
	ds_read_b32 v41, v34
	ds_read_b32 v39, v35
	;; [unrolled: 1-line block ×3, first 2 shown]
	s_and_saveexec_b32 s1, s0
	s_cbranch_execz .LBB0_21
; %bb.20:
	ds_read_b32 v12, v33
	ds_read_b32 v37, v27 offset:2280
	ds_read_b32 v31, v27 offset:3480
.LBB0_21:
	s_or_b32 exec_lo, exec_lo, s1
	v_add_f32_e32 v21, v48, v45
	v_add_f32_e32 v38, v24, v48
	v_sub_f32_e32 v48, v49, v50
	v_add_f32_e32 v49, v47, v13
	v_sub_f32_e32 v2, v2, v5
	v_fmac_f32_e32 v24, -0.5, v21
	v_add_f32_e32 v21, v23, v47
	v_add_f32_e32 v45, v38, v45
	;; [unrolled: 1-line block ×4, first 2 shown]
	v_sub_f32_e32 v4, v4, v25
	v_add_f32_e32 v21, v21, v13
	v_add_f32_e32 v13, v6, v3
	v_fmac_f32_e32 v32, -0.5, v38
	v_sub_f32_e32 v47, v51, v52
	v_fmac_f32_e32 v23, -0.5, v49
	v_add_f32_e32 v6, v22, v6
	v_fmac_f32_e32 v22, -0.5, v13
	v_fmamk_f32 v49, v48, 0xbf5db3d7, v24
	v_add_f32_e32 v13, v5, v7
	v_fmamk_f32 v38, v4, 0xbf5db3d7, v32
	v_fmac_f32_e32 v32, 0x3f5db3d7, v4
	v_fmac_f32_e32 v24, 0x3f5db3d7, v48
	v_fmamk_f32 v48, v47, 0xbf5db3d7, v23
	v_fmac_f32_e32 v23, 0x3f5db3d7, v47
	v_add_f32_e32 v3, v6, v3
	v_fmamk_f32 v6, v2, 0xbf5db3d7, v22
	v_fmac_f32_e32 v22, 0x3f5db3d7, v2
	s_waitcnt lgkmcnt(0)
	s_barrier
	buffer_gl0_inv
	ds_write2_b32 v27, v45, v49 offset1:100
	ds_write_b32 v27, v24 offset:800
	ds_write2_b32 v43, v21, v48 offset1:100
	ds_write_b32 v43, v23 offset:800
	;; [unrolled: 2-line block ×3, first 2 shown]
	s_and_saveexec_b32 s1, s0
	s_cbranch_execz .LBB0_23
; %bb.22:
	v_mov_b32_e32 v2, 2
	v_lshlrev_b32_sdwa v2, v2, v42 dst_sel:DWORD dst_unused:UNUSED_PAD src0_sel:DWORD src1_sel:WORD_0
	v_add3_u32 v2, 0, v2, v20
	v_add_nc_u32_e32 v3, 0x800, v2
	ds_write2_b32 v3, v13, v38 offset0:88 offset1:188
	ds_write_b32 v2, v32 offset:3200
.LBB0_23:
	s_or_b32 exec_lo, exec_lo, s1
	v_add_nc_u32_e32 v2, 0x400, v27
	v_add_nc_u32_e32 v3, 0x600, v27
	;; [unrolled: 1-line block ×3, first 2 shown]
	s_waitcnt lgkmcnt(0)
	s_barrier
	buffer_gl0_inv
	ds_read2_b32 v[20:21], v2 offset0:44 offset1:134
	ds_read2_b32 v[24:25], v3 offset0:96 offset1:216
	;; [unrolled: 1-line block ×3, first 2 shown]
	ds_read_b32 v42, v34
	ds_read_b32 v34, v35
	;; [unrolled: 1-line block ×3, first 2 shown]
	s_and_saveexec_b32 s1, s0
	s_cbranch_execz .LBB0_25
; %bb.24:
	ds_read_b32 v13, v33
	ds_read_b32 v38, v27 offset:2280
	ds_read_b32 v32, v27 offset:3480
.LBB0_25:
	s_or_b32 exec_lo, exec_lo, s1
	s_and_saveexec_b32 s1, vcc_lo
	s_cbranch_execz .LBB0_28
; %bb.26:
	v_add_co_u32 v0, vcc_lo, 0x800, v0
	v_add_co_ci_u32_e32 v1, vcc_lo, 0, v1, vcc_lo
	v_lshlrev_b32_e32 v26, 1, v26
	v_mov_b32_e32 v27, 0
	v_mul_hi_u32 v33, 0x1b4e81b5, v28
	global_load_dwordx4 v[43:46], v[0:1], off offset:272
	v_add_nc_u32_e32 v36, 0x5a, v28
	v_add_nc_u32_e32 v51, 0xb4, v28
	v_lshlrev_b64 v[0:1], 3, v[26:27]
	v_lshlrev_b32_e32 v26, 1, v30
	v_mul_lo_u32 v30, s4, v11
	v_mul_hi_u32 v49, 0x1b4e81b5, v36
	v_mul_hi_u32 v50, 0x1b4e81b5, v51
	v_lshrrev_b32_e32 v33, 5, v33
	v_add_co_u32 v0, vcc_lo, s8, v0
	v_add_co_ci_u32_e32 v1, vcc_lo, s9, v1, vcc_lo
	v_lshlrev_b64 v[2:3], 3, v[26:27]
	v_add_co_u32 v0, vcc_lo, 0x800, v0
	v_add_co_ci_u32_e32 v1, vcc_lo, 0, v1, vcc_lo
	v_mul_lo_u32 v26, s5, v10
	v_mad_u64_u32 v[10:11], null, s4, v10, 0
	global_load_dwordx4 v[4:7], v[0:1], off offset:272
	v_add_co_u32 v0, vcc_lo, s8, v2
	v_add_co_ci_u32_e32 v1, vcc_lo, s9, v3, vcc_lo
	v_lshlrev_b64 v[47:48], 3, v[8:9]
	v_add_co_u32 v0, vcc_lo, 0x800, v0
	v_add_co_ci_u32_e32 v1, vcc_lo, 0, v1, vcc_lo
	v_add3_u32 v11, v11, v30, v26
	v_mul_u32_u24_e32 v26, 0x12c, v33
	v_lshrrev_b32_e32 v30, 5, v49
	global_load_dwordx4 v[0:3], v[0:1], off offset:272
	v_lshrrev_b32_e32 v33, 5, v50
	v_lshlrev_b64 v[9:10], 3, v[10:11]
	v_sub_nc_u32_e32 v26, v28, v26
	v_mul_u32_u24_e32 v11, 0x12c, v30
	v_add_nc_u32_e32 v8, 0x10e, v28
	v_mul_u32_u24_e32 v52, 0x12c, v33
	v_add_co_u32 v9, s1, s14, v9
	v_add_co_ci_u32_e64 v10, s1, s15, v10, s1
	v_mad_u64_u32 v[49:50], null, s2, v26, 0
	v_add_nc_u32_e32 v66, 0x12c, v26
	v_sub_nc_u32_e32 v11, v36, v11
	v_add_nc_u32_e32 v68, 0x258, v26
	v_sub_nc_u32_e32 v36, v51, v52
	v_add_co_u32 v9, s1, v9, v47
	v_add_co_ci_u32_e64 v10, s1, v10, v48, s1
	v_mad_u64_u32 v[47:48], null, s2, v66, 0
	v_mad_u32_u24 v30, 0x384, v30, v11
	v_mad_u64_u32 v[51:52], null, s2, v68, 0
	v_mad_u32_u24 v33, 0x384, v33, v36
	v_mov_b32_e32 v11, v50
	v_mad_u64_u32 v[53:54], null, s2, v30, 0
	v_add_nc_u32_e32 v36, 0x12c, v30
	v_add_nc_u32_e32 v70, 0x258, v30
	v_mad_u64_u32 v[55:56], null, s2, v33, 0
	v_add_nc_u32_e32 v71, 0x12c, v33
	v_add_nc_u32_e32 v72, 0x258, v33
	v_mad_u64_u32 v[57:58], null, s3, v26, v[11:12]
	v_mov_b32_e32 v11, v48
	v_mov_b32_e32 v26, v52
	v_mad_u64_u32 v[58:59], null, s2, v36, 0
	v_mad_u64_u32 v[60:61], null, s2, v70, 0
	;; [unrolled: 1-line block ×5, first 2 shown]
	v_mov_b32_e32 v11, v54
	v_mad_u64_u32 v[67:68], null, s3, v68, v[26:27]
	v_mov_b32_e32 v26, v56
	v_mov_b32_e32 v50, v57
	v_mad_u64_u32 v[56:57], null, s3, v30, v[11:12]
	v_mov_b32_e32 v11, v59
	v_mov_b32_e32 v30, v61
	v_mad_u64_u32 v[68:69], null, s3, v33, v[26:27]
	v_mov_b32_e32 v26, v63
	v_mov_b32_e32 v33, v65
	v_mov_b32_e32 v48, v66
	v_mad_u64_u32 v[65:66], null, s3, v36, v[11:12]
	v_mov_b32_e32 v52, v67
	v_mad_u64_u32 v[66:67], null, s3, v70, v[30:31]
	v_mad_u64_u32 v[69:70], null, s3, v71, v[26:27]
	s_waitcnt lgkmcnt(1)
	v_mad_u64_u32 v[70:71], null, s3, v72, v[33:34]
	v_lshlrev_b64 v[49:50], 3, v[49:50]
	v_lshlrev_b64 v[47:48], 3, v[47:48]
	;; [unrolled: 1-line block ×3, first 2 shown]
	v_mov_b32_e32 v54, v56
	v_mov_b32_e32 v56, v68
	;; [unrolled: 1-line block ×3, first 2 shown]
	v_add_co_u32 v49, s1, v9, v49
	v_add_co_ci_u32_e64 v50, s1, v10, v50, s1
	v_add_co_u32 v47, s1, v9, v47
	v_add_co_ci_u32_e64 v48, s1, v10, v48, s1
	v_add_co_u32 v51, s1, v9, v51
	v_lshlrev_b64 v[53:54], 3, v[53:54]
	v_add_co_ci_u32_e64 v52, s1, v10, v52, s1
	v_lshlrev_b64 v[55:56], 3, v[55:56]
	v_mov_b32_e32 v61, v66
	v_lshlrev_b64 v[57:58], 3, v[58:59]
	v_add_co_u32 v53, s1, v9, v53
	v_mov_b32_e32 v63, v69
	v_add_co_ci_u32_e64 v54, s1, v10, v54, s1
	v_lshlrev_b64 v[59:60], 3, v[60:61]
	v_add_co_u32 v55, s1, v9, v55
	v_mov_b32_e32 v65, v70
	v_add_co_ci_u32_e64 v56, s1, v10, v56, s1
	v_lshlrev_b64 v[61:62], 3, v[62:63]
	v_add_co_u32 v57, s1, v9, v57
	v_add_co_ci_u32_e64 v58, s1, v10, v58, s1
	v_lshlrev_b64 v[63:64], 3, v[64:65]
	v_add_co_u32 v59, s1, v9, v59
	v_add_co_ci_u32_e64 v60, s1, v10, v60, s1
	v_cmp_gt_u32_e32 vcc_lo, 0x12c, v8
	v_add_co_u32 v61, s1, v9, v61
	v_add_co_ci_u32_e64 v62, s1, v10, v62, s1
	s_waitcnt vmcnt(2)
	v_mul_f32_e32 v11, v20, v44
	v_mul_f32_e32 v26, v25, v46
	;; [unrolled: 1-line block ×4, first 2 shown]
	v_fma_f32 v11, v14, v43, -v11
	v_fma_f32 v14, v19, v45, -v26
	v_fmac_f32_e32 v30, v20, v43
	v_fmac_f32_e32 v33, v25, v45
	v_add_co_u32 v19, s1, v9, v63
	v_sub_f32_e32 v36, v11, v14
	v_add_f32_e32 v44, v11, v14
	v_add_f32_e32 v25, v30, v33
	;; [unrolled: 1-line block ×4, first 2 shown]
	v_sub_f32_e32 v30, v30, v33
	v_add_co_ci_u32_e64 v20, s1, v10, v64, s1
	v_fma_f32 v26, -0.5, v25, v42
	v_fma_f32 v25, -0.5, v44, v41
	v_add_f32_e32 v41, v11, v14
	s_waitcnt vmcnt(1)
	v_mul_f32_e32 v11, v24, v5
	v_mul_f32_e32 v14, v23, v7
	;; [unrolled: 1-line block ×4, first 2 shown]
	v_add_f32_e32 v42, v43, v33
	v_fmamk_f32 v44, v36, 0x3f5db3d7, v26
	v_fmac_f32_e32 v26, 0xbf5db3d7, v36
	v_fmamk_f32 v43, v30, 0xbf5db3d7, v25
	v_fmac_f32_e32 v25, 0x3f5db3d7, v30
	v_fma_f32 v11, v18, v4, -v11
	v_fma_f32 v14, v17, v6, -v14
	v_fmac_f32_e32 v5, v24, v4
	v_fmac_f32_e32 v7, v23, v6
	s_waitcnt vmcnt(0)
	v_mul_f32_e32 v4, v21, v1
	v_mul_f32_e32 v6, v22, v3
	;; [unrolled: 1-line block ×4, first 2 shown]
	global_store_dwordx2 v[49:50], v[41:42], off
	global_store_dwordx2 v[47:48], v[25:26], off
	;; [unrolled: 1-line block ×3, first 2 shown]
	v_add_f32_e32 v1, v5, v7
	s_waitcnt lgkmcnt(0)
	v_add_f32_e32 v3, v35, v5
	v_sub_f32_e32 v25, v5, v7
	v_add_f32_e32 v5, v40, v11
	v_fma_f32 v4, v15, v0, -v4
	v_fma_f32 v6, v16, v2, -v6
	v_fmac_f32_e32 v17, v21, v0
	v_fmac_f32_e32 v18, v22, v2
	v_add_f32_e32 v2, v5, v14
	v_add_f32_e32 v24, v11, v14
	;; [unrolled: 1-line block ×3, first 2 shown]
	v_sub_f32_e32 v23, v11, v14
	v_add_f32_e32 v5, v17, v18
	v_add_f32_e32 v14, v34, v17
	;; [unrolled: 1-line block ×3, first 2 shown]
	v_sub_f32_e32 v11, v4, v6
	v_sub_f32_e32 v21, v17, v18
	v_fma_f32 v5, -0.5, v5, v34
	v_fma_f32 v4, -0.5, v15, v39
	;; [unrolled: 1-line block ×4, first 2 shown]
	v_add_f32_e32 v15, v14, v18
	v_add_f32_e32 v14, v16, v6
	v_fmamk_f32 v17, v11, 0x3f5db3d7, v5
	v_fmac_f32_e32 v5, 0xbf5db3d7, v11
	v_fmamk_f32 v16, v21, 0xbf5db3d7, v4
	v_fmac_f32_e32 v4, 0x3f5db3d7, v21
	v_add_f32_e32 v3, v3, v7
	v_fmamk_f32 v7, v23, 0x3f5db3d7, v1
	v_fmac_f32_e32 v1, 0xbf5db3d7, v23
	v_fmamk_f32 v6, v25, 0xbf5db3d7, v0
	v_fmac_f32_e32 v0, 0x3f5db3d7, v25
	global_store_dwordx2 v[53:54], v[14:15], off
	global_store_dwordx2 v[57:58], v[4:5], off
	;; [unrolled: 1-line block ×6, first 2 shown]
	s_and_b32 exec_lo, exec_lo, vcc_lo
	s_cbranch_execz .LBB0_28
; %bb.27:
	v_subrev_nc_u32_e32 v0, 30, v28
	v_add_nc_u32_e32 v17, 0x23a, v28
	v_add_nc_u32_e32 v18, 0x366, v28
	v_mad_u64_u32 v[4:5], null, s2, v8, 0
	v_cndmask_b32_e64 v0, v0, v29, s0
	v_mad_u64_u32 v[6:7], null, s2, v17, 0
	v_mad_u64_u32 v[14:15], null, s2, v18, 0
	v_lshlrev_b32_e32 v26, 1, v0
	v_lshlrev_b64 v[0:1], 3, v[26:27]
	v_mov_b32_e32 v11, v15
	v_mad_u64_u32 v[15:16], null, s3, v8, v[5:6]
	v_mad_u64_u32 v[7:8], null, s3, v17, v[7:8]
	v_add_co_u32 v0, vcc_lo, s8, v0
	v_add_co_ci_u32_e32 v1, vcc_lo, s9, v1, vcc_lo
	v_mad_u64_u32 v[16:17], null, s3, v18, v[11:12]
	v_add_co_u32 v0, vcc_lo, 0x800, v0
	v_add_co_ci_u32_e32 v1, vcc_lo, 0, v1, vcc_lo
	v_mov_b32_e32 v5, v15
	v_lshlrev_b64 v[6:7], 3, v[6:7]
	v_mov_b32_e32 v15, v16
	global_load_dwordx4 v[0:3], v[0:1], off offset:272
	v_lshlrev_b64 v[4:5], 3, v[4:5]
	v_lshlrev_b64 v[14:15], 3, v[14:15]
	v_add_co_u32 v4, vcc_lo, v9, v4
	v_add_co_ci_u32_e32 v5, vcc_lo, v10, v5, vcc_lo
	v_add_co_u32 v6, vcc_lo, v9, v6
	v_add_co_ci_u32_e32 v7, vcc_lo, v10, v7, vcc_lo
	s_waitcnt vmcnt(0)
	v_mul_f32_e32 v8, v38, v1
	v_mul_f32_e32 v11, v37, v1
	;; [unrolled: 1-line block ×4, first 2 shown]
	v_fma_f32 v8, v37, v0, -v8
	v_fmac_f32_e32 v11, v38, v0
	v_fma_f32 v16, v31, v2, -v1
	v_fmac_f32_e32 v3, v32, v2
	v_add_co_u32 v0, vcc_lo, v9, v14
	v_add_co_ci_u32_e32 v1, vcc_lo, v10, v15, vcc_lo
	v_add_f32_e32 v2, v8, v16
	v_add_f32_e32 v10, v11, v3
	;; [unrolled: 1-line block ×3, first 2 shown]
	v_sub_f32_e32 v14, v11, v3
	v_add_f32_e32 v11, v13, v11
	v_fmac_f32_e32 v12, -0.5, v2
	v_sub_f32_e32 v15, v8, v16
	v_fmac_f32_e32 v13, -0.5, v10
	v_add_f32_e32 v2, v9, v16
	v_add_f32_e32 v3, v11, v3
	v_fmamk_f32 v8, v14, 0x3f5db3d7, v12
	v_fmac_f32_e32 v12, 0xbf5db3d7, v14
	v_fmamk_f32 v9, v15, 0xbf5db3d7, v13
	v_fmac_f32_e32 v13, 0x3f5db3d7, v15
	global_store_dwordx2 v[4:5], v[2:3], off
	global_store_dwordx2 v[6:7], v[8:9], off
	;; [unrolled: 1-line block ×3, first 2 shown]
.LBB0_28:
	s_endpgm
	.section	.rodata,"a",@progbits
	.p2align	6, 0x0
	.amdhsa_kernel fft_rtc_fwd_len900_factors_10_10_3_3_wgs_180_tpt_90_halfLds_sp_op_CI_CI_sbrr_dirReg
		.amdhsa_group_segment_fixed_size 0
		.amdhsa_private_segment_fixed_size 0
		.amdhsa_kernarg_size 104
		.amdhsa_user_sgpr_count 6
		.amdhsa_user_sgpr_private_segment_buffer 1
		.amdhsa_user_sgpr_dispatch_ptr 0
		.amdhsa_user_sgpr_queue_ptr 0
		.amdhsa_user_sgpr_kernarg_segment_ptr 1
		.amdhsa_user_sgpr_dispatch_id 0
		.amdhsa_user_sgpr_flat_scratch_init 0
		.amdhsa_user_sgpr_private_segment_size 0
		.amdhsa_wavefront_size32 1
		.amdhsa_uses_dynamic_stack 0
		.amdhsa_system_sgpr_private_segment_wavefront_offset 0
		.amdhsa_system_sgpr_workgroup_id_x 1
		.amdhsa_system_sgpr_workgroup_id_y 0
		.amdhsa_system_sgpr_workgroup_id_z 0
		.amdhsa_system_sgpr_workgroup_info 0
		.amdhsa_system_vgpr_workitem_id 0
		.amdhsa_next_free_vgpr 73
		.amdhsa_next_free_sgpr 31
		.amdhsa_reserve_vcc 1
		.amdhsa_reserve_flat_scratch 0
		.amdhsa_float_round_mode_32 0
		.amdhsa_float_round_mode_16_64 0
		.amdhsa_float_denorm_mode_32 3
		.amdhsa_float_denorm_mode_16_64 3
		.amdhsa_dx10_clamp 1
		.amdhsa_ieee_mode 1
		.amdhsa_fp16_overflow 0
		.amdhsa_workgroup_processor_mode 1
		.amdhsa_memory_ordered 1
		.amdhsa_forward_progress 0
		.amdhsa_shared_vgpr_count 0
		.amdhsa_exception_fp_ieee_invalid_op 0
		.amdhsa_exception_fp_denorm_src 0
		.amdhsa_exception_fp_ieee_div_zero 0
		.amdhsa_exception_fp_ieee_overflow 0
		.amdhsa_exception_fp_ieee_underflow 0
		.amdhsa_exception_fp_ieee_inexact 0
		.amdhsa_exception_int_div_zero 0
	.end_amdhsa_kernel
	.text
.Lfunc_end0:
	.size	fft_rtc_fwd_len900_factors_10_10_3_3_wgs_180_tpt_90_halfLds_sp_op_CI_CI_sbrr_dirReg, .Lfunc_end0-fft_rtc_fwd_len900_factors_10_10_3_3_wgs_180_tpt_90_halfLds_sp_op_CI_CI_sbrr_dirReg
                                        ; -- End function
	.section	.AMDGPU.csdata,"",@progbits
; Kernel info:
; codeLenInByte = 7600
; NumSgprs: 33
; NumVgprs: 73
; ScratchSize: 0
; MemoryBound: 0
; FloatMode: 240
; IeeeMode: 1
; LDSByteSize: 0 bytes/workgroup (compile time only)
; SGPRBlocks: 4
; VGPRBlocks: 9
; NumSGPRsForWavesPerEU: 33
; NumVGPRsForWavesPerEU: 73
; Occupancy: 12
; WaveLimiterHint : 1
; COMPUTE_PGM_RSRC2:SCRATCH_EN: 0
; COMPUTE_PGM_RSRC2:USER_SGPR: 6
; COMPUTE_PGM_RSRC2:TRAP_HANDLER: 0
; COMPUTE_PGM_RSRC2:TGID_X_EN: 1
; COMPUTE_PGM_RSRC2:TGID_Y_EN: 0
; COMPUTE_PGM_RSRC2:TGID_Z_EN: 0
; COMPUTE_PGM_RSRC2:TIDIG_COMP_CNT: 0
	.text
	.p2alignl 6, 3214868480
	.fill 48, 4, 3214868480
	.type	__hip_cuid_b1411846560cecd2,@object ; @__hip_cuid_b1411846560cecd2
	.section	.bss,"aw",@nobits
	.globl	__hip_cuid_b1411846560cecd2
__hip_cuid_b1411846560cecd2:
	.byte	0                               ; 0x0
	.size	__hip_cuid_b1411846560cecd2, 1

	.ident	"AMD clang version 19.0.0git (https://github.com/RadeonOpenCompute/llvm-project roc-6.4.0 25133 c7fe45cf4b819c5991fe208aaa96edf142730f1d)"
	.section	".note.GNU-stack","",@progbits
	.addrsig
	.addrsig_sym __hip_cuid_b1411846560cecd2
	.amdgpu_metadata
---
amdhsa.kernels:
  - .args:
      - .actual_access:  read_only
        .address_space:  global
        .offset:         0
        .size:           8
        .value_kind:     global_buffer
      - .offset:         8
        .size:           8
        .value_kind:     by_value
      - .actual_access:  read_only
        .address_space:  global
        .offset:         16
        .size:           8
        .value_kind:     global_buffer
      - .actual_access:  read_only
        .address_space:  global
        .offset:         24
        .size:           8
        .value_kind:     global_buffer
      - .actual_access:  read_only
        .address_space:  global
        .offset:         32
        .size:           8
        .value_kind:     global_buffer
      - .offset:         40
        .size:           8
        .value_kind:     by_value
      - .actual_access:  read_only
        .address_space:  global
        .offset:         48
        .size:           8
        .value_kind:     global_buffer
      - .actual_access:  read_only
        .address_space:  global
        .offset:         56
        .size:           8
        .value_kind:     global_buffer
      - .offset:         64
        .size:           4
        .value_kind:     by_value
      - .actual_access:  read_only
        .address_space:  global
        .offset:         72
        .size:           8
        .value_kind:     global_buffer
      - .actual_access:  read_only
        .address_space:  global
        .offset:         80
        .size:           8
        .value_kind:     global_buffer
      - .actual_access:  read_only
        .address_space:  global
        .offset:         88
        .size:           8
        .value_kind:     global_buffer
      - .actual_access:  write_only
        .address_space:  global
        .offset:         96
        .size:           8
        .value_kind:     global_buffer
    .group_segment_fixed_size: 0
    .kernarg_segment_align: 8
    .kernarg_segment_size: 104
    .language:       OpenCL C
    .language_version:
      - 2
      - 0
    .max_flat_workgroup_size: 180
    .name:           fft_rtc_fwd_len900_factors_10_10_3_3_wgs_180_tpt_90_halfLds_sp_op_CI_CI_sbrr_dirReg
    .private_segment_fixed_size: 0
    .sgpr_count:     33
    .sgpr_spill_count: 0
    .symbol:         fft_rtc_fwd_len900_factors_10_10_3_3_wgs_180_tpt_90_halfLds_sp_op_CI_CI_sbrr_dirReg.kd
    .uniform_work_group_size: 1
    .uses_dynamic_stack: false
    .vgpr_count:     73
    .vgpr_spill_count: 0
    .wavefront_size: 32
    .workgroup_processor_mode: 1
amdhsa.target:   amdgcn-amd-amdhsa--gfx1030
amdhsa.version:
  - 1
  - 2
...

	.end_amdgpu_metadata
